;; amdgpu-corpus repo=ROCm/rocFFT kind=compiled arch=gfx906 opt=O3
	.text
	.amdgcn_target "amdgcn-amd-amdhsa--gfx906"
	.amdhsa_code_object_version 6
	.protected	fft_rtc_fwd_len120_factors_6_10_2_wgs_60_tpt_12_halfLds_half_ip_CI_unitstride_sbrr_dirReg ; -- Begin function fft_rtc_fwd_len120_factors_6_10_2_wgs_60_tpt_12_halfLds_half_ip_CI_unitstride_sbrr_dirReg
	.globl	fft_rtc_fwd_len120_factors_6_10_2_wgs_60_tpt_12_halfLds_half_ip_CI_unitstride_sbrr_dirReg
	.p2align	8
	.type	fft_rtc_fwd_len120_factors_6_10_2_wgs_60_tpt_12_halfLds_half_ip_CI_unitstride_sbrr_dirReg,@function
fft_rtc_fwd_len120_factors_6_10_2_wgs_60_tpt_12_halfLds_half_ip_CI_unitstride_sbrr_dirReg: ; @fft_rtc_fwd_len120_factors_6_10_2_wgs_60_tpt_12_halfLds_half_ip_CI_unitstride_sbrr_dirReg
; %bb.0:
	s_load_dwordx2 s[2:3], s[4:5], 0x50
	s_load_dwordx4 s[8:11], s[4:5], 0x0
	s_load_dwordx2 s[12:13], s[4:5], 0x18
	v_mul_u32_u24_e32 v1, 0x1556, v0
	v_lshrrev_b32_e32 v1, 16, v1
	v_mad_u64_u32 v[4:5], s[0:1], s6, 5, v[1:2]
	v_mov_b32_e32 v6, 0
	s_waitcnt lgkmcnt(0)
	v_cmp_lt_u64_e64 s[0:1], s[10:11], 2
	v_mov_b32_e32 v5, v6
	v_mov_b32_e32 v1, 0
	;; [unrolled: 1-line block ×3, first 2 shown]
	s_and_b64 vcc, exec, s[0:1]
	v_mov_b32_e32 v2, 0
	v_mov_b32_e32 v10, v4
	s_cbranch_vccnz .LBB0_8
; %bb.1:
	s_load_dwordx2 s[0:1], s[4:5], 0x10
	s_add_u32 s6, s12, 8
	s_addc_u32 s7, s13, 0
	v_mov_b32_e32 v1, 0
	v_mov_b32_e32 v9, v5
	s_waitcnt lgkmcnt(0)
	s_add_u32 s16, s0, 8
	s_mov_b64 s[14:15], 1
	v_mov_b32_e32 v2, 0
	s_addc_u32 s17, s1, 0
	v_mov_b32_e32 v8, v4
.LBB0_2:                                ; =>This Inner Loop Header: Depth=1
	s_load_dwordx2 s[18:19], s[16:17], 0x0
                                        ; implicit-def: $vgpr10_vgpr11
	s_waitcnt lgkmcnt(0)
	v_or_b32_e32 v7, s19, v9
	v_cmp_ne_u64_e32 vcc, 0, v[6:7]
	s_and_saveexec_b64 s[0:1], vcc
	s_xor_b64 s[20:21], exec, s[0:1]
	s_cbranch_execz .LBB0_4
; %bb.3:                                ;   in Loop: Header=BB0_2 Depth=1
	v_cvt_f32_u32_e32 v3, s18
	v_cvt_f32_u32_e32 v5, s19
	s_sub_u32 s0, 0, s18
	s_subb_u32 s1, 0, s19
	v_mac_f32_e32 v3, 0x4f800000, v5
	v_rcp_f32_e32 v3, v3
	v_mul_f32_e32 v3, 0x5f7ffffc, v3
	v_mul_f32_e32 v5, 0x2f800000, v3
	v_trunc_f32_e32 v5, v5
	v_mac_f32_e32 v3, 0xcf800000, v5
	v_cvt_u32_f32_e32 v5, v5
	v_cvt_u32_f32_e32 v3, v3
	v_mul_lo_u32 v7, s0, v5
	v_mul_hi_u32 v10, s0, v3
	v_mul_lo_u32 v12, s1, v3
	v_mul_lo_u32 v11, s0, v3
	v_add_u32_e32 v7, v10, v7
	v_add_u32_e32 v7, v7, v12
	v_mul_hi_u32 v10, v3, v11
	v_mul_lo_u32 v12, v3, v7
	v_mul_hi_u32 v14, v3, v7
	v_mul_hi_u32 v13, v5, v11
	v_mul_lo_u32 v11, v5, v11
	v_mul_hi_u32 v15, v5, v7
	v_add_co_u32_e32 v10, vcc, v10, v12
	v_addc_co_u32_e32 v12, vcc, 0, v14, vcc
	v_mul_lo_u32 v7, v5, v7
	v_add_co_u32_e32 v10, vcc, v10, v11
	v_addc_co_u32_e32 v10, vcc, v12, v13, vcc
	v_addc_co_u32_e32 v11, vcc, 0, v15, vcc
	v_add_co_u32_e32 v7, vcc, v10, v7
	v_addc_co_u32_e32 v10, vcc, 0, v11, vcc
	v_add_co_u32_e32 v3, vcc, v3, v7
	v_addc_co_u32_e32 v5, vcc, v5, v10, vcc
	v_mul_lo_u32 v7, s0, v5
	v_mul_hi_u32 v10, s0, v3
	v_mul_lo_u32 v11, s1, v3
	v_mul_lo_u32 v12, s0, v3
	v_add_u32_e32 v7, v10, v7
	v_add_u32_e32 v7, v7, v11
	v_mul_lo_u32 v13, v3, v7
	v_mul_hi_u32 v14, v3, v12
	v_mul_hi_u32 v15, v3, v7
	;; [unrolled: 1-line block ×3, first 2 shown]
	v_mul_lo_u32 v12, v5, v12
	v_mul_hi_u32 v10, v5, v7
	v_add_co_u32_e32 v13, vcc, v14, v13
	v_addc_co_u32_e32 v14, vcc, 0, v15, vcc
	v_mul_lo_u32 v7, v5, v7
	v_add_co_u32_e32 v12, vcc, v13, v12
	v_addc_co_u32_e32 v11, vcc, v14, v11, vcc
	v_addc_co_u32_e32 v10, vcc, 0, v10, vcc
	v_add_co_u32_e32 v7, vcc, v11, v7
	v_addc_co_u32_e32 v10, vcc, 0, v10, vcc
	v_add_co_u32_e32 v3, vcc, v3, v7
	v_addc_co_u32_e32 v5, vcc, v5, v10, vcc
	v_mad_u64_u32 v[10:11], s[0:1], v8, v5, 0
	v_mul_hi_u32 v7, v8, v3
	v_mad_u64_u32 v[12:13], s[0:1], v9, v5, 0
	v_add_co_u32_e32 v7, vcc, v7, v10
	v_addc_co_u32_e32 v14, vcc, 0, v11, vcc
	v_mad_u64_u32 v[10:11], s[0:1], v9, v3, 0
	v_add_co_u32_e32 v3, vcc, v7, v10
	v_addc_co_u32_e32 v3, vcc, v14, v11, vcc
	v_addc_co_u32_e32 v5, vcc, 0, v13, vcc
	v_add_co_u32_e32 v3, vcc, v3, v12
	v_addc_co_u32_e32 v5, vcc, 0, v5, vcc
	v_mul_lo_u32 v7, s19, v3
	v_mul_lo_u32 v12, s18, v5
	v_mad_u64_u32 v[10:11], s[0:1], s18, v3, 0
	v_add3_u32 v7, v11, v12, v7
	v_sub_u32_e32 v11, v9, v7
	v_mov_b32_e32 v12, s19
	v_sub_co_u32_e32 v10, vcc, v8, v10
	v_subb_co_u32_e64 v11, s[0:1], v11, v12, vcc
	v_subrev_co_u32_e64 v12, s[0:1], s18, v10
	v_subbrev_co_u32_e64 v11, s[0:1], 0, v11, s[0:1]
	v_cmp_le_u32_e64 s[0:1], s19, v11
	v_cndmask_b32_e64 v13, 0, -1, s[0:1]
	v_cmp_le_u32_e64 s[0:1], s18, v12
	v_cndmask_b32_e64 v12, 0, -1, s[0:1]
	v_cmp_eq_u32_e64 s[0:1], s19, v11
	v_cndmask_b32_e64 v11, v13, v12, s[0:1]
	v_add_co_u32_e64 v12, s[0:1], 2, v3
	v_addc_co_u32_e64 v13, s[0:1], 0, v5, s[0:1]
	v_add_co_u32_e64 v14, s[0:1], 1, v3
	v_addc_co_u32_e64 v15, s[0:1], 0, v5, s[0:1]
	v_subb_co_u32_e32 v7, vcc, v9, v7, vcc
	v_cmp_ne_u32_e64 s[0:1], 0, v11
	v_cmp_le_u32_e32 vcc, s19, v7
	v_cndmask_b32_e64 v11, v15, v13, s[0:1]
	v_cndmask_b32_e64 v13, 0, -1, vcc
	v_cmp_le_u32_e32 vcc, s18, v10
	v_cndmask_b32_e64 v10, 0, -1, vcc
	v_cmp_eq_u32_e32 vcc, s19, v7
	v_cndmask_b32_e32 v7, v13, v10, vcc
	v_cmp_ne_u32_e32 vcc, 0, v7
	v_cndmask_b32_e32 v11, v5, v11, vcc
	v_cndmask_b32_e64 v5, v14, v12, s[0:1]
	v_cndmask_b32_e32 v10, v3, v5, vcc
.LBB0_4:                                ;   in Loop: Header=BB0_2 Depth=1
	s_andn2_saveexec_b64 s[0:1], s[20:21]
	s_cbranch_execz .LBB0_6
; %bb.5:                                ;   in Loop: Header=BB0_2 Depth=1
	v_cvt_f32_u32_e32 v3, s18
	s_sub_i32 s20, 0, s18
	v_mov_b32_e32 v11, v6
	v_rcp_iflag_f32_e32 v3, v3
	v_mul_f32_e32 v3, 0x4f7ffffe, v3
	v_cvt_u32_f32_e32 v3, v3
	v_mul_lo_u32 v5, s20, v3
	v_mul_hi_u32 v5, v3, v5
	v_add_u32_e32 v3, v3, v5
	v_mul_hi_u32 v3, v8, v3
	v_mul_lo_u32 v5, v3, s18
	v_add_u32_e32 v7, 1, v3
	v_sub_u32_e32 v5, v8, v5
	v_subrev_u32_e32 v10, s18, v5
	v_cmp_le_u32_e32 vcc, s18, v5
	v_cndmask_b32_e32 v5, v5, v10, vcc
	v_cndmask_b32_e32 v3, v3, v7, vcc
	v_add_u32_e32 v7, 1, v3
	v_cmp_le_u32_e32 vcc, s18, v5
	v_cndmask_b32_e32 v10, v3, v7, vcc
.LBB0_6:                                ;   in Loop: Header=BB0_2 Depth=1
	s_or_b64 exec, exec, s[0:1]
	v_mul_lo_u32 v3, v11, s18
	v_mul_lo_u32 v5, v10, s19
	v_mad_u64_u32 v[12:13], s[0:1], v10, s18, 0
	s_load_dwordx2 s[0:1], s[6:7], 0x0
	s_add_u32 s14, s14, 1
	v_add3_u32 v3, v13, v5, v3
	v_sub_co_u32_e32 v5, vcc, v8, v12
	v_subb_co_u32_e32 v3, vcc, v9, v3, vcc
	s_waitcnt lgkmcnt(0)
	v_mul_lo_u32 v3, s0, v3
	v_mul_lo_u32 v7, s1, v5
	v_mad_u64_u32 v[1:2], s[0:1], s0, v5, v[1:2]
	s_addc_u32 s15, s15, 0
	s_add_u32 s6, s6, 8
	v_add3_u32 v2, v7, v2, v3
	v_mov_b32_e32 v7, s10
	v_mov_b32_e32 v8, s11
	s_addc_u32 s7, s7, 0
	v_cmp_ge_u64_e32 vcc, s[14:15], v[7:8]
	s_add_u32 s16, s16, 8
	s_addc_u32 s17, s17, 0
	s_cbranch_vccnz .LBB0_8
; %bb.7:                                ;   in Loop: Header=BB0_2 Depth=1
	v_mov_b32_e32 v8, v10
	v_mov_b32_e32 v9, v11
	s_branch .LBB0_2
.LBB0_8:
	s_lshl_b64 s[0:1], s[10:11], 3
	s_add_u32 s0, s12, s0
	s_addc_u32 s1, s13, s1
	s_load_dwordx2 s[6:7], s[0:1], 0x0
	s_load_dwordx2 s[10:11], s[4:5], 0x20
                                        ; implicit-def: $vgpr9
                                        ; implicit-def: $vgpr7
                                        ; implicit-def: $vgpr20
                                        ; implicit-def: $vgpr8
                                        ; implicit-def: $vgpr21
                                        ; implicit-def: $vgpr18
                                        ; implicit-def: $vgpr22
                                        ; implicit-def: $vgpr19
                                        ; implicit-def: $vgpr12
                                        ; implicit-def: $vgpr16
                                        ; implicit-def: $vgpr13
                                        ; implicit-def: $vgpr15
                                        ; implicit-def: $vgpr14
	s_waitcnt lgkmcnt(0)
	v_mad_u64_u32 v[1:2], s[0:1], s6, v10, v[1:2]
	v_mul_lo_u32 v3, s6, v11
	v_mul_lo_u32 v5, s7, v10
	s_mov_b32 s0, 0x15555556
	v_mul_hi_u32 v6, v0, s0
	v_cmp_gt_u64_e32 vcc, s[10:11], v[10:11]
	v_add3_u32 v2, v5, v2, v3
	v_lshlrev_b64 v[2:3], 2, v[1:2]
	v_mul_u32_u24_e32 v5, 12, v6
	v_sub_u32_e32 v0, v0, v5
                                        ; implicit-def: $vgpr5
                                        ; implicit-def: $vgpr10
                                        ; implicit-def: $vgpr6
                                        ; implicit-def: $vgpr1
                                        ; implicit-def: $vgpr11
	s_and_saveexec_b64 s[4:5], vcc
	s_cbranch_execz .LBB0_12
; %bb.9:
	v_mov_b32_e32 v1, 0
	v_mov_b32_e32 v5, s3
	v_add_co_u32_e64 v7, s[0:1], s2, v2
	v_addc_co_u32_e64 v8, s[0:1], v5, v3, s[0:1]
	v_lshlrev_b64 v[5:6], 2, v[0:1]
                                        ; implicit-def: $vgpr13
                                        ; implicit-def: $vgpr16
                                        ; implicit-def: $vgpr12
                                        ; implicit-def: $vgpr19
                                        ; implicit-def: $vgpr22
                                        ; implicit-def: $vgpr18
                                        ; implicit-def: $vgpr21
                                        ; implicit-def: $vgpr20
	v_add_co_u32_e64 v5, s[0:1], v7, v5
	v_addc_co_u32_e64 v6, s[0:1], v8, v6, s[0:1]
	global_load_dword v10, v[5:6], off
	global_load_dword v11, v[5:6], off offset:400
	global_load_dword v7, v[5:6], off offset:320
	;; [unrolled: 1-line block ×5, first 2 shown]
	v_cmp_gt_u32_e64 s[0:1], 8, v0
                                        ; implicit-def: $vgpr8
	s_and_saveexec_b64 s[6:7], s[0:1]
	s_cbranch_execz .LBB0_11
; %bb.10:
	global_load_dword v8, v[5:6], off offset:48
	global_load_dword v18, v[5:6], off offset:208
	;; [unrolled: 1-line block ×6, first 2 shown]
	s_waitcnt vmcnt(5)
	v_lshrrev_b32_e32 v20, 16, v8
	s_waitcnt vmcnt(4)
	v_lshrrev_b32_e32 v21, 16, v18
	;; [unrolled: 2-line block ×3, first 2 shown]
.LBB0_11:
	s_or_b64 exec, exec, s[6:7]
	s_waitcnt vmcnt(5)
	v_lshrrev_b32_e32 v5, 16, v10
	s_waitcnt vmcnt(1)
	v_lshrrev_b32_e32 v6, 16, v1
	v_lshrrev_b32_e32 v9, 16, v7
.LBB0_12:
	s_or_b64 exec, exec, s[4:5]
	s_mov_b32 s0, 0xcccccccd
	v_mul_hi_u32 v17, v4, s0
	v_add_f16_e32 v24, v1, v7
	v_add_f16_e32 v23, v10, v1
	s_movk_i32 s6, 0x3aee
	v_lshrrev_b32_e32 v17, 2, v17
	v_lshl_add_u32 v17, v17, 2, v17
	v_sub_u32_e32 v4, v4, v17
	v_mul_u32_u24_e32 v17, 0x78, v4
	v_fma_f16 v4, v24, -0.5, v10
	v_sub_f16_e32 v10, v6, v9
	s_mov_b32 s7, 0xbaee
	v_fma_f16 v24, v10, s6, v4
	v_fma_f16 v4, v10, s7, v4
	s_waitcnt vmcnt(0)
	v_pk_add_f16 v10, v15, v14
	v_pk_add_f16 v10, v10, v11
	;; [unrolled: 1-line block ×3, first 2 shown]
	v_pk_add_f16 v11, v14, v11 neg_lo:[0,1] neg_hi:[0,1]
	v_pk_fma_f16 v15, v25, 0.5, v15 op_sel_hi:[1,0,1] neg_lo:[1,0,0] neg_hi:[1,0,0]
	v_pk_mul_f16 v14, v11, s6 op_sel_hi:[1,0]
	v_pk_add_f16 v11, v15, v14 op_sel:[0,1] op_sel_hi:[1,0] neg_lo:[0,1] neg_hi:[0,1]
	v_pk_add_f16 v14, v14, v15 op_sel:[1,0] op_sel_hi:[0,1]
	v_mul_f16_e32 v15, 0.5, v14
	v_lshrrev_b32_e32 v25, 16, v11
	v_fma_f16 v15, v25, s6, v15
	v_mul_f16_e32 v25, -0.5, v11
	v_lshrrev_b32_e32 v27, 16, v14
	v_fma_f16 v25, v27, s6, v25
	v_add_f16_e32 v26, v24, v15
	v_add_f16_e32 v27, v4, v25
	v_sub_f16_e32 v15, v24, v15
	v_sub_f16_e32 v28, v4, v25
	v_pk_add_f16 v24, v16, v13
	v_pk_add_f16 v25, v16, v13 neg_lo:[0,1] neg_hi:[0,1]
	v_add_f16_e32 v23, v23, v7
	v_pk_add_f16 v4, v12, v16
	v_pk_fma_f16 v12, v24, 0.5, v12 op_sel_hi:[1,0,1] neg_lo:[1,0,0] neg_hi:[1,0,0]
	v_pk_mul_f16 v24, v25, s6 op_sel_hi:[1,0]
	v_pk_add_f16 v4, v4, v13
	v_add_f16_e32 v13, v23, v10
	v_sub_f16_e32 v16, v23, v10
	v_pk_add_f16 v23, v12, v24 op_sel:[0,1] op_sel_hi:[1,0] neg_lo:[0,1] neg_hi:[0,1]
	v_pk_add_f16 v24, v24, v12 op_sel:[1,0] op_sel_hi:[0,1]
	v_mul_u32_u24_e32 v12, 6, v0
	v_lshl_add_u32 v12, v12, 1, 0
	v_pack_b32_f16 v16, v27, v16
	v_lshl_add_u32 v25, v17, 1, v12
	v_pack_b32_f16 v13, v13, v26
	ds_write2_b32 v25, v13, v16 offset1:1
	v_pack_b32_f16 v13, v15, v28
	v_cmp_gt_u32_e64 s[0:1], 8, v0
	ds_write_b32 v25, v13 offset:8
	s_and_saveexec_b64 s[4:5], s[0:1]
	s_cbranch_execz .LBB0_14
; %bb.13:
	v_add_f16_e32 v13, v18, v19
	v_fma_f16 v13, v13, -0.5, v8
	v_sub_f16_e32 v15, v21, v22
	v_fma_f16 v16, v15, s7, v13
	v_lshrrev_b32_e32 v26, 16, v24
	v_mul_f16_e32 v27, -0.5, v23
	v_fma_f16 v13, v15, s6, v13
	v_mul_f16_e32 v15, 0.5, v24
	v_lshrrev_b32_e32 v28, 16, v23
	v_add_f16_e32 v8, v8, v18
	v_fma_f16 v26, v26, s6, v27
	v_fma_f16 v15, v28, s6, v15
	v_add_f16_e32 v8, v8, v19
	v_sub_f16_e32 v27, v16, v26
	v_sub_f16_e32 v28, v13, v15
	;; [unrolled: 1-line block ×3, first 2 shown]
	v_add_f16_e32 v16, v16, v26
	v_add_f16_e32 v13, v13, v15
	;; [unrolled: 1-line block ×3, first 2 shown]
	v_pack_b32_f16 v15, v16, v29
	v_pack_b32_f16 v8, v8, v13
	ds_write2_b32 v25, v8, v15 offset0:36 offset1:37
	v_pack_b32_f16 v8, v28, v27
	ds_write_b32 v25, v8 offset:152
.LBB0_14:
	s_or_b64 exec, exec, s[4:5]
	v_add_f16_e32 v8, v5, v6
	v_add_f16_e32 v6, v6, v9
	v_sub_f16_e32 v1, v1, v7
	v_fma_f16 v5, v6, -0.5, v5
	v_mul_f16_e32 v1, 0x3aee, v1
	s_mov_b32 s7, 0x38003aee
	v_pk_add_f16 v6, v5, v1 neg_lo:[0,1] neg_hi:[0,1]
	v_pk_add_f16 v1, v5, v1
	s_mov_b32 s6, 0x3800baee
	v_pk_mul_f16 v5, v14, s7
	v_add_f16_e32 v8, v8, v9
	v_pack_b32_f16 v1, v1, v6
	v_pk_fma_f16 v5, v11, s6, v5 op_sel:[0,0,1] op_sel_hi:[1,1,0] neg_lo:[0,0,1] neg_hi:[0,0,1]
	v_add_f16_sdwa v26, v8, v10 dst_sel:DWORD dst_unused:UNUSED_PAD src0_sel:DWORD src1_sel:WORD_1
	v_pk_add_f16 v27, v1, v5
	v_sub_f16_sdwa v28, v8, v10 dst_sel:DWORD dst_unused:UNUSED_PAD src0_sel:DWORD src1_sel:WORD_1
	v_pk_add_f16 v5, v1, v5 neg_lo:[0,1] neg_hi:[0,1]
	v_lshlrev_b32_e32 v8, 1, v17
	v_lshlrev_b32_e32 v1, 1, v0
	v_add3_u32 v6, 0, v8, v1
	v_mul_i32_i24_e32 v1, -10, v0
	s_waitcnt lgkmcnt(0)
	; wave barrier
	s_waitcnt lgkmcnt(0)
	v_add3_u32 v7, v12, v1, v8
	ds_read_u16 v1, v6
	ds_read_u16 v17, v7 offset:24
	ds_read_u16 v16, v7 offset:48
	;; [unrolled: 1-line block ×9, first 2 shown]
	s_mov_b32 s10, 0xffff
	v_bfi_b32 v26, s10, v26, v27
	v_pack_b32_f16 v27, v27, v28
	v_alignbit_b32 v5, v5, v5, 16
	s_waitcnt lgkmcnt(0)
	; wave barrier
	s_waitcnt lgkmcnt(0)
	ds_write2_b32 v25, v26, v27 offset1:1
	ds_write_b32 v25, v5 offset:8
	s_and_saveexec_b64 s[4:5], s[0:1]
	s_cbranch_execz .LBB0_16
; %bb.15:
	v_add_f16_e32 v5, v20, v21
	v_add_f16_e32 v21, v21, v22
	v_sub_f16_e32 v18, v18, v19
	v_fma_f16 v20, v21, -0.5, v20
	v_mul_f16_e32 v18, 0x3aee, v18
	v_pk_add_f16 v21, v20, v18 neg_lo:[0,1] neg_hi:[0,1]
	v_pk_add_f16 v18, v20, v18
	v_pk_mul_f16 v20, v24, s7
	v_add_f16_e32 v5, v5, v22
	v_pack_b32_f16 v18, v18, v21
	v_pk_fma_f16 v20, v23, s6, v20 op_sel:[0,0,1] op_sel_hi:[1,1,0] neg_lo:[0,0,1] neg_hi:[0,0,1]
	v_add_f16_sdwa v19, v4, v5 dst_sel:DWORD dst_unused:UNUSED_PAD src0_sel:WORD_1 src1_sel:DWORD
	v_pk_add_f16 v21, v18, v20
	v_sub_f16_sdwa v4, v5, v4 dst_sel:DWORD dst_unused:UNUSED_PAD src0_sel:DWORD src1_sel:WORD_1
	v_pk_add_f16 v5, v18, v20 neg_lo:[0,1] neg_hi:[0,1]
	v_add_u32_e32 v18, 12, v0
	v_mul_u32_u24_e32 v18, 6, v18
	v_lshlrev_b32_e32 v18, 1, v18
	v_add3_u32 v18, 0, v18, v8
	v_bfi_b32 v19, s10, v19, v21
	v_pack_b32_f16 v4, v21, v4
	ds_write2_b32 v18, v19, v4 offset1:1
	v_alignbit_b32 v4, v5, v5, 16
	ds_write_b32 v18, v4 offset:8
.LBB0_16:
	s_or_b64 exec, exec, s[4:5]
	v_add_u32_e32 v4, -6, v0
	v_cmp_gt_u32_e64 s[0:1], 6, v0
	v_cndmask_b32_e64 v28, v4, v0, s[0:1]
	v_mul_i32_i24_e32 v4, 9, v28
	v_mov_b32_e32 v5, 0
	v_lshlrev_b64 v[18:19], 2, v[4:5]
	v_mov_b32_e32 v4, s9
	v_add_co_u32_e64 v26, s[0:1], s8, v18
	v_addc_co_u32_e64 v27, s[0:1], v4, v19, s[0:1]
	s_waitcnt lgkmcnt(0)
	; wave barrier
	s_waitcnt lgkmcnt(0)
	global_load_dwordx4 v[18:21], v[26:27], off
	ds_read_u16 v4, v7 offset:48
	ds_read_u16 v29, v7 offset:72
	;; [unrolled: 1-line block ×7, first 2 shown]
	ds_read_u16 v35, v6
	global_load_dwordx4 v[22:25], v[26:27], off offset:16
	v_cmp_lt_u32_e64 s[0:1], 5, v0
	s_movk_i32 s4, 0x3b9c
	s_mov_b32 s6, 0xbb9c
	s_movk_i32 s5, 0x38b4
	s_mov_b32 s7, 0xb8b4
	s_waitcnt vmcnt(1) lgkmcnt(1)
	v_mul_f16_sdwa v36, v34, v18 dst_sel:DWORD dst_unused:UNUSED_PAD src0_sel:DWORD src1_sel:WORD_1
	v_fma_f16 v36, v17, v18, -v36
	v_mul_f16_sdwa v17, v17, v18 dst_sel:DWORD dst_unused:UNUSED_PAD src0_sel:DWORD src1_sel:WORD_1
	v_fma_f16 v17, v34, v18, v17
	v_mul_f16_sdwa v18, v4, v19 dst_sel:DWORD dst_unused:UNUSED_PAD src0_sel:DWORD src1_sel:WORD_1
	v_fma_f16 v18, v16, v19, -v18
	v_mul_f16_sdwa v16, v16, v19 dst_sel:DWORD dst_unused:UNUSED_PAD src0_sel:DWORD src1_sel:WORD_1
	v_fma_f16 v4, v4, v19, v16
	v_mul_f16_sdwa v16, v29, v20 dst_sel:DWORD dst_unused:UNUSED_PAD src0_sel:DWORD src1_sel:WORD_1
	v_fma_f16 v16, v15, v20, -v16
	v_mul_f16_sdwa v15, v15, v20 dst_sel:DWORD dst_unused:UNUSED_PAD src0_sel:DWORD src1_sel:WORD_1
	v_fma_f16 v15, v29, v20, v15
	v_mul_f16_sdwa v19, v30, v21 dst_sel:DWORD dst_unused:UNUSED_PAD src0_sel:DWORD src1_sel:WORD_1
	s_waitcnt vmcnt(0)
	v_mul_f16_sdwa v20, v31, v22 dst_sel:DWORD dst_unused:UNUSED_PAD src0_sel:DWORD src1_sel:WORD_1
	v_fma_f16 v19, v14, v21, -v19
	v_mul_f16_sdwa v14, v14, v21 dst_sel:DWORD dst_unused:UNUSED_PAD src0_sel:DWORD src1_sel:WORD_1
	v_fma_f16 v20, v13, v22, -v20
	v_mul_f16_sdwa v13, v13, v22 dst_sel:DWORD dst_unused:UNUSED_PAD src0_sel:DWORD src1_sel:WORD_1
	v_fma_f16 v14, v30, v21, v14
	v_fma_f16 v13, v31, v22, v13
	v_mul_f16_sdwa v21, v32, v23 dst_sel:DWORD dst_unused:UNUSED_PAD src0_sel:DWORD src1_sel:WORD_1
	v_mul_f16_sdwa v22, v33, v24 dst_sel:DWORD dst_unused:UNUSED_PAD src0_sel:DWORD src1_sel:WORD_1
	v_fma_f16 v21, v12, v23, -v21
	v_mul_f16_sdwa v12, v12, v23 dst_sel:DWORD dst_unused:UNUSED_PAD src0_sel:DWORD src1_sel:WORD_1
	v_fma_f16 v22, v11, v24, -v22
	v_mul_f16_sdwa v11, v11, v24 dst_sel:DWORD dst_unused:UNUSED_PAD src0_sel:DWORD src1_sel:WORD_1
	v_fma_f16 v12, v32, v23, v12
	v_fma_f16 v11, v33, v24, v11
	ds_read_u16 v23, v7 offset:192
	ds_read_u16 v24, v7 offset:216
	v_sub_f16_e32 v31, v14, v12
	s_waitcnt lgkmcnt(1)
	v_mul_f16_sdwa v29, v23, v25 dst_sel:DWORD dst_unused:UNUSED_PAD src0_sel:DWORD src1_sel:WORD_1
	v_fma_f16 v29, v10, v25, -v29
	v_mul_f16_sdwa v10, v10, v25 dst_sel:DWORD dst_unused:UNUSED_PAD src0_sel:DWORD src1_sel:WORD_1
	v_fma_f16 v10, v23, v25, v10
	global_load_dword v23, v[26:27], off offset:32
	v_mov_b32_e32 v25, 0x78
	v_cndmask_b32_e64 v25, 0, v25, s[0:1]
	v_add_u32_e32 v25, 0, v25
	v_lshlrev_b32_e32 v26, 1, v28
	v_add3_u32 v25, v25, v26, v8
	v_sub_f16_e32 v27, v21, v29
	v_add_f16_e32 v28, v19, v21
	v_fma_f16 v28, v28, -0.5, v1
	s_movk_i32 s0, 0x34f2
	s_movk_i32 s1, 0x3a79
	s_waitcnt lgkmcnt(0)
	; wave barrier
	s_waitcnt vmcnt(0) lgkmcnt(0)
	v_mul_f16_sdwa v8, v24, v23 dst_sel:DWORD dst_unused:UNUSED_PAD src0_sel:DWORD src1_sel:WORD_1
	v_mul_f16_sdwa v26, v9, v23 dst_sel:DWORD dst_unused:UNUSED_PAD src0_sel:DWORD src1_sel:WORD_1
	v_fma_f16 v8, v9, v23, -v8
	v_fma_f16 v9, v24, v23, v26
	v_sub_f16_e32 v23, v18, v19
	v_sub_f16_e32 v24, v29, v21
	;; [unrolled: 1-line block ×3, first 2 shown]
	v_add_f16_e32 v23, v23, v24
	v_add_f16_e32 v24, v18, v29
	;; [unrolled: 1-line block ×3, first 2 shown]
	v_sub_f16_e32 v27, v4, v10
	v_fma_f16 v24, v24, -0.5, v1
	v_fma_f16 v30, v27, s4, v28
	v_fma_f16 v28, v27, s6, v28
	v_fma_f16 v32, v31, s6, v24
	v_fma_f16 v24, v31, s4, v24
	v_add_f16_e32 v1, v1, v18
	v_fma_f16 v30, v31, s5, v30
	v_fma_f16 v28, v31, s7, v28
	v_fma_f16 v31, v27, s5, v32
	v_fma_f16 v24, v27, s7, v24
	v_add_f16_e32 v1, v1, v19
	;; [unrolled: 5-line block ×3, first 2 shown]
	v_sub_f16_e32 v19, v19, v21
	v_sub_f16_e32 v21, v4, v14
	;; [unrolled: 1-line block ×3, first 2 shown]
	v_add_f16_e32 v21, v21, v26
	v_add_f16_e32 v26, v14, v12
	v_sub_f16_e32 v18, v18, v29
	v_fma_f16 v26, v26, -0.5, v35
	v_add_f16_e32 v1, v1, v29
	v_fma_f16 v29, v18, s6, v26
	v_fma_f16 v26, v18, s4, v26
	v_add_f16_e32 v30, v35, v4
	v_fma_f16 v29, v19, s7, v29
	v_fma_f16 v26, v19, s5, v26
	v_add_f16_e32 v30, v30, v14
	v_fma_f16 v29, v21, s0, v29
	v_fma_f16 v21, v21, s0, v26
	v_add_f16_e32 v26, v4, v10
	v_sub_f16_e32 v4, v14, v4
	v_add_f16_e32 v14, v30, v12
	v_fma_f16 v26, v26, -0.5, v35
	v_add_f16_e32 v14, v14, v10
	v_sub_f16_e32 v10, v12, v10
	v_add_f16_e32 v4, v4, v10
	v_fma_f16 v10, v19, s4, v26
	v_fma_f16 v12, v19, s6, v26
	;; [unrolled: 1-line block ×6, first 2 shown]
	v_sub_f16_e32 v12, v16, v20
	v_sub_f16_e32 v18, v8, v22
	v_add_f16_e32 v12, v12, v18
	v_add_f16_e32 v18, v20, v22
	v_fma_f16 v18, v18, -0.5, v36
	v_sub_f16_e32 v19, v15, v9
	v_fma_f16 v26, v19, s4, v18
	v_sub_f16_e32 v30, v13, v11
	v_fma_f16 v18, v19, s6, v18
	v_fma_f16 v26, v30, s5, v26
	;; [unrolled: 1-line block ×5, first 2 shown]
	v_sub_f16_e32 v18, v20, v16
	v_sub_f16_e32 v31, v22, v8
	v_add_f16_e32 v18, v18, v31
	v_add_f16_e32 v31, v16, v8
	v_fma_f16 v31, v31, -0.5, v36
	v_fma_f16 v32, v30, s6, v31
	v_fma_f16 v30, v30, s4, v31
	;; [unrolled: 1-line block ×6, first 2 shown]
	v_add_f16_e32 v19, v36, v16
	v_add_f16_e32 v19, v19, v20
	;; [unrolled: 1-line block ×4, first 2 shown]
	v_sub_f16_e32 v8, v16, v8
	v_sub_f16_e32 v16, v20, v22
	;; [unrolled: 1-line block ×4, first 2 shown]
	v_add_f16_e32 v20, v20, v22
	v_add_f16_e32 v22, v13, v11
	v_fma_f16 v22, v22, -0.5, v17
	v_fma_f16 v31, v8, s6, v22
	v_fma_f16 v22, v8, s4, v22
	;; [unrolled: 1-line block ×6, first 2 shown]
	v_add_f16_e32 v22, v15, v9
	v_fma_f16 v22, v22, -0.5, v17
	v_add_f16_e32 v17, v17, v15
	v_add_f16_e32 v17, v17, v13
	v_sub_f16_e32 v13, v13, v15
	v_add_f16_e32 v15, v17, v11
	v_add_f16_e32 v15, v15, v9
	v_sub_f16_e32 v9, v11, v9
	v_fma_f16 v11, v16, s4, v22
	v_add_f16_e32 v9, v13, v9
	v_fma_f16 v13, v16, s6, v22
	v_fma_f16 v11, v8, s7, v11
	;; [unrolled: 1-line block ×4, first 2 shown]
	v_mul_f16_e32 v17, 0xbb9c, v30
	v_fma_f16 v8, v9, s0, v8
	v_mul_f16_e32 v16, 0x3b9c, v11
	v_fma_f16 v11, v11, s0, v17
	v_mul_f16_e32 v17, 0x34f2, v18
	v_fma_f16 v17, v8, s4, -v17
	v_mul_f16_e32 v8, 0x34f2, v8
	v_mul_f16_e32 v9, 0x38b4, v31
	v_fma_f16 v8, v18, s6, -v8
	v_mul_f16_e32 v18, 0x3a79, v12
	v_fma_f16 v9, v26, s1, v9
	v_mul_f16_e32 v13, 0xb8b4, v26
	v_fma_f16 v16, v30, s0, v16
	v_fma_f16 v18, v20, s5, -v18
	v_mul_f16_e32 v20, 0x3a79, v20
	v_fma_f16 v13, v31, s1, v13
	v_fma_f16 v12, v12, s7, -v20
	v_add_f16_e32 v20, v1, v19
	v_sub_f16_e32 v1, v1, v19
	v_add_f16_e32 v19, v27, v9
	v_sub_f16_e32 v9, v27, v9
	;; [unrolled: 2-line block ×10, first 2 shown]
	ds_write_b16 v25, v20
	ds_write_b16 v25, v19 offset:12
	ds_write_b16 v25, v22 offset:24
	ds_write_b16 v25, v26 offset:36
	ds_write_b16 v25, v24 offset:48
	ds_write_b16 v25, v1 offset:60
	ds_write_b16 v25, v9 offset:72
	ds_write_b16 v25, v16 offset:84
	ds_write_b16 v25, v17 offset:96
	ds_write_b16 v25, v18 offset:108
	s_waitcnt lgkmcnt(0)
	; wave barrier
	s_waitcnt lgkmcnt(0)
	ds_read_u16 v8, v6
	ds_read_u16 v9, v7 offset:24
	ds_read_u16 v10, v7 offset:48
	;; [unrolled: 1-line block ×9, first 2 shown]
	s_waitcnt lgkmcnt(0)
	; wave barrier
	s_waitcnt lgkmcnt(0)
	ds_write_b16 v25, v23
	ds_write_b16 v25, v28 offset:12
	ds_write_b16 v25, v30 offset:24
	;; [unrolled: 1-line block ×9, first 2 shown]
	s_waitcnt lgkmcnt(0)
	; wave barrier
	s_waitcnt lgkmcnt(0)
	s_and_saveexec_b64 s[0:1], vcc
	s_cbranch_execz .LBB0_18
; %bb.17:
	v_mov_b32_e32 v1, v5
	v_lshlrev_b64 v[18:19], 2, v[0:1]
	v_mov_b32_e32 v1, s9
	v_add_co_u32_e32 v20, vcc, s8, v18
	v_addc_co_u32_e32 v21, vcc, v1, v19, vcc
	global_load_dword v22, v[20:21], off offset:408
	global_load_dword v23, v[20:21], off offset:360
	;; [unrolled: 1-line block ×5, first 2 shown]
	v_add_u32_e32 v4, 24, v0
	s_mov_b32 s0, 0x88888889
	v_mul_hi_u32 v4, v4, s0
	v_mov_b32_e32 v1, s3
	v_add_co_u32_e32 v2, vcc, s2, v2
	v_addc_co_u32_e32 v3, vcc, v1, v3, vcc
	v_add_u32_e32 v1, 36, v0
	v_mul_hi_u32 v33, v1, s0
	v_lshrrev_b32_e32 v1, 5, v4
	ds_read_u16 v20, v7 offset:216
	ds_read_u16 v21, v7 offset:192
	;; [unrolled: 1-line block ×9, first 2 shown]
	ds_read_u16 v6, v6
	v_mul_lo_u32 v4, v1, 60
	v_add_co_u32_e32 v1, vcc, v2, v18
	v_addc_co_u32_e32 v2, vcc, v3, v19, vcc
	v_lshlrev_b64 v[3:4], 2, v[4:5]
	v_or_b32_e32 v0, 48, v0
	v_mul_hi_u32 v0, v0, s0
	v_lshrrev_b32_e32 v0, 5, v0
	s_waitcnt vmcnt(4) lgkmcnt(9)
	v_mul_f16_sdwa v18, v20, v22 dst_sel:DWORD dst_unused:UNUSED_PAD src0_sel:DWORD src1_sel:WORD_1
	v_mul_f16_sdwa v19, v17, v22 dst_sel:DWORD dst_unused:UNUSED_PAD src0_sel:DWORD src1_sel:WORD_1
	v_fma_f16 v17, v17, v22, -v18
	s_waitcnt vmcnt(3) lgkmcnt(8)
	v_mul_f16_sdwa v18, v21, v23 dst_sel:DWORD dst_unused:UNUSED_PAD src0_sel:DWORD src1_sel:WORD_1
	v_fma_f16 v19, v22, v20, v19
	v_mul_f16_sdwa v20, v16, v23 dst_sel:DWORD dst_unused:UNUSED_PAD src0_sel:DWORD src1_sel:WORD_1
	s_waitcnt vmcnt(2) lgkmcnt(7)
	v_mul_f16_sdwa v22, v27, v24 dst_sel:DWORD dst_unused:UNUSED_PAD src0_sel:DWORD src1_sel:WORD_1
	v_fma_f16 v16, v16, v23, -v18
	v_mul_f16_sdwa v18, v15, v24 dst_sel:DWORD dst_unused:UNUSED_PAD src0_sel:DWORD src1_sel:WORD_1
	v_fma_f16 v15, v15, v24, -v22
	s_waitcnt vmcnt(0) lgkmcnt(5)
	v_mul_f16_sdwa v22, v29, v26 dst_sel:DWORD dst_unused:UNUSED_PAD src0_sel:DWORD src1_sel:WORD_1
	v_fma_f16 v18, v24, v27, v18
	v_mul_f16_sdwa v24, v13, v26 dst_sel:DWORD dst_unused:UNUSED_PAD src0_sel:DWORD src1_sel:WORD_1
	v_fma_f16 v20, v23, v21, v20
	v_mul_f16_sdwa v21, v28, v25 dst_sel:DWORD dst_unused:UNUSED_PAD src0_sel:DWORD src1_sel:WORD_1
	v_mul_f16_sdwa v23, v14, v25 dst_sel:DWORD dst_unused:UNUSED_PAD src0_sel:DWORD src1_sel:WORD_1
	v_fma_f16 v13, v13, v26, -v22
	v_fma_f16 v22, v26, v29, v24
	v_fma_f16 v14, v14, v25, -v21
	v_fma_f16 v21, v25, v28, v23
	v_sub_f16_e32 v13, v8, v13
	s_waitcnt lgkmcnt(0)
	v_sub_f16_e32 v22, v6, v22
	v_sub_f16_e32 v14, v9, v14
	;; [unrolled: 1-line block ×3, first 2 shown]
	v_fma_f16 v8, v8, 2.0, -v13
	v_fma_f16 v6, v6, 2.0, -v22
	;; [unrolled: 1-line block ×4, first 2 shown]
	v_pack_b32_f16 v13, v13, v22
	v_pack_b32_f16 v14, v14, v21
	;; [unrolled: 1-line block ×3, first 2 shown]
	global_store_dword v[1:2], v13, off offset:240
	v_pack_b32_f16 v7, v9, v7
	global_store_dword v[1:2], v14, off offset:288
	global_store_dword v[1:2], v6, off
	global_store_dword v[1:2], v7, off offset:48
	v_add_co_u32_e32 v6, vcc, v1, v3
	v_addc_co_u32_e32 v7, vcc, v2, v4, vcc
	v_lshrrev_b32_e32 v4, 5, v33
	v_sub_f16_e32 v15, v10, v15
	v_sub_f16_e32 v18, v32, v18
	v_mul_lo_u32 v4, v4, 60
	v_fma_f16 v10, v10, 2.0, -v15
	v_fma_f16 v25, v32, 2.0, -v18
	v_pack_b32_f16 v3, v10, v25
	global_store_dword v[6:7], v3, off offset:96
	v_pack_b32_f16 v3, v15, v18
	global_store_dword v[6:7], v3, off offset:336
	v_lshlrev_b64 v[3:4], 2, v[4:5]
	v_sub_f16_e32 v16, v11, v16
	v_add_co_u32_e32 v6, vcc, v1, v3
	v_addc_co_u32_e32 v7, vcc, v2, v4, vcc
	v_mul_lo_u32 v4, v0, 60
	v_sub_f16_e32 v20, v31, v20
	v_fma_f16 v11, v11, 2.0, -v16
	v_fma_f16 v24, v31, 2.0, -v20
	v_pack_b32_f16 v3, v11, v24
	global_store_dword v[6:7], v3, off offset:144
	v_lshlrev_b64 v[3:4], 2, v[4:5]
	v_sub_f16_e32 v17, v12, v17
	v_sub_f16_e32 v19, v30, v19
	v_pack_b32_f16 v0, v16, v20
	v_fma_f16 v12, v12, 2.0, -v17
	v_fma_f16 v23, v30, 2.0, -v19
	global_store_dword v[6:7], v0, off offset:384
	v_add_co_u32_e32 v0, vcc, v1, v3
	v_addc_co_u32_e32 v1, vcc, v2, v4, vcc
	v_pack_b32_f16 v2, v12, v23
	global_store_dword v[0:1], v2, off offset:192
	v_pack_b32_f16 v2, v17, v19
	global_store_dword v[0:1], v2, off offset:432
.LBB0_18:
	s_endpgm
	.section	.rodata,"a",@progbits
	.p2align	6, 0x0
	.amdhsa_kernel fft_rtc_fwd_len120_factors_6_10_2_wgs_60_tpt_12_halfLds_half_ip_CI_unitstride_sbrr_dirReg
		.amdhsa_group_segment_fixed_size 0
		.amdhsa_private_segment_fixed_size 0
		.amdhsa_kernarg_size 88
		.amdhsa_user_sgpr_count 6
		.amdhsa_user_sgpr_private_segment_buffer 1
		.amdhsa_user_sgpr_dispatch_ptr 0
		.amdhsa_user_sgpr_queue_ptr 0
		.amdhsa_user_sgpr_kernarg_segment_ptr 1
		.amdhsa_user_sgpr_dispatch_id 0
		.amdhsa_user_sgpr_flat_scratch_init 0
		.amdhsa_user_sgpr_private_segment_size 0
		.amdhsa_uses_dynamic_stack 0
		.amdhsa_system_sgpr_private_segment_wavefront_offset 0
		.amdhsa_system_sgpr_workgroup_id_x 1
		.amdhsa_system_sgpr_workgroup_id_y 0
		.amdhsa_system_sgpr_workgroup_id_z 0
		.amdhsa_system_sgpr_workgroup_info 0
		.amdhsa_system_vgpr_workitem_id 0
		.amdhsa_next_free_vgpr 37
		.amdhsa_next_free_sgpr 22
		.amdhsa_reserve_vcc 1
		.amdhsa_reserve_flat_scratch 0
		.amdhsa_float_round_mode_32 0
		.amdhsa_float_round_mode_16_64 0
		.amdhsa_float_denorm_mode_32 3
		.amdhsa_float_denorm_mode_16_64 3
		.amdhsa_dx10_clamp 1
		.amdhsa_ieee_mode 1
		.amdhsa_fp16_overflow 0
		.amdhsa_exception_fp_ieee_invalid_op 0
		.amdhsa_exception_fp_denorm_src 0
		.amdhsa_exception_fp_ieee_div_zero 0
		.amdhsa_exception_fp_ieee_overflow 0
		.amdhsa_exception_fp_ieee_underflow 0
		.amdhsa_exception_fp_ieee_inexact 0
		.amdhsa_exception_int_div_zero 0
	.end_amdhsa_kernel
	.text
.Lfunc_end0:
	.size	fft_rtc_fwd_len120_factors_6_10_2_wgs_60_tpt_12_halfLds_half_ip_CI_unitstride_sbrr_dirReg, .Lfunc_end0-fft_rtc_fwd_len120_factors_6_10_2_wgs_60_tpt_12_halfLds_half_ip_CI_unitstride_sbrr_dirReg
                                        ; -- End function
	.section	.AMDGPU.csdata,"",@progbits
; Kernel info:
; codeLenInByte = 4764
; NumSgprs: 26
; NumVgprs: 37
; ScratchSize: 0
; MemoryBound: 0
; FloatMode: 240
; IeeeMode: 1
; LDSByteSize: 0 bytes/workgroup (compile time only)
; SGPRBlocks: 3
; VGPRBlocks: 9
; NumSGPRsForWavesPerEU: 26
; NumVGPRsForWavesPerEU: 37
; Occupancy: 6
; WaveLimiterHint : 1
; COMPUTE_PGM_RSRC2:SCRATCH_EN: 0
; COMPUTE_PGM_RSRC2:USER_SGPR: 6
; COMPUTE_PGM_RSRC2:TRAP_HANDLER: 0
; COMPUTE_PGM_RSRC2:TGID_X_EN: 1
; COMPUTE_PGM_RSRC2:TGID_Y_EN: 0
; COMPUTE_PGM_RSRC2:TGID_Z_EN: 0
; COMPUTE_PGM_RSRC2:TIDIG_COMP_CNT: 0
	.type	__hip_cuid_ca7971ed3efdf500,@object ; @__hip_cuid_ca7971ed3efdf500
	.section	.bss,"aw",@nobits
	.globl	__hip_cuid_ca7971ed3efdf500
__hip_cuid_ca7971ed3efdf500:
	.byte	0                               ; 0x0
	.size	__hip_cuid_ca7971ed3efdf500, 1

	.ident	"AMD clang version 19.0.0git (https://github.com/RadeonOpenCompute/llvm-project roc-6.4.0 25133 c7fe45cf4b819c5991fe208aaa96edf142730f1d)"
	.section	".note.GNU-stack","",@progbits
	.addrsig
	.addrsig_sym __hip_cuid_ca7971ed3efdf500
	.amdgpu_metadata
---
amdhsa.kernels:
  - .args:
      - .actual_access:  read_only
        .address_space:  global
        .offset:         0
        .size:           8
        .value_kind:     global_buffer
      - .offset:         8
        .size:           8
        .value_kind:     by_value
      - .actual_access:  read_only
        .address_space:  global
        .offset:         16
        .size:           8
        .value_kind:     global_buffer
      - .actual_access:  read_only
        .address_space:  global
        .offset:         24
        .size:           8
        .value_kind:     global_buffer
      - .offset:         32
        .size:           8
        .value_kind:     by_value
      - .actual_access:  read_only
        .address_space:  global
        .offset:         40
        .size:           8
        .value_kind:     global_buffer
      - .actual_access:  read_only
        .address_space:  global
        .offset:         48
        .size:           8
        .value_kind:     global_buffer
      - .offset:         56
        .size:           4
        .value_kind:     by_value
      - .actual_access:  read_only
        .address_space:  global
        .offset:         64
        .size:           8
        .value_kind:     global_buffer
      - .actual_access:  read_only
        .address_space:  global
        .offset:         72
        .size:           8
        .value_kind:     global_buffer
      - .address_space:  global
        .offset:         80
        .size:           8
        .value_kind:     global_buffer
    .group_segment_fixed_size: 0
    .kernarg_segment_align: 8
    .kernarg_segment_size: 88
    .language:       OpenCL C
    .language_version:
      - 2
      - 0
    .max_flat_workgroup_size: 60
    .name:           fft_rtc_fwd_len120_factors_6_10_2_wgs_60_tpt_12_halfLds_half_ip_CI_unitstride_sbrr_dirReg
    .private_segment_fixed_size: 0
    .sgpr_count:     26
    .sgpr_spill_count: 0
    .symbol:         fft_rtc_fwd_len120_factors_6_10_2_wgs_60_tpt_12_halfLds_half_ip_CI_unitstride_sbrr_dirReg.kd
    .uniform_work_group_size: 1
    .uses_dynamic_stack: false
    .vgpr_count:     37
    .vgpr_spill_count: 0
    .wavefront_size: 64
amdhsa.target:   amdgcn-amd-amdhsa--gfx906
amdhsa.version:
  - 1
  - 2
...

	.end_amdgpu_metadata
